;; amdgpu-corpus repo=ROCm/rocFFT kind=compiled arch=gfx1201 opt=O3
	.text
	.amdgcn_target "amdgcn-amd-amdhsa--gfx1201"
	.amdhsa_code_object_version 6
	.protected	fft_rtc_back_len810_factors_3_10_3_3_3_wgs_81_tpt_81_halfLds_dp_ip_CI_unitstride_sbrr_C2R_dirReg ; -- Begin function fft_rtc_back_len810_factors_3_10_3_3_3_wgs_81_tpt_81_halfLds_dp_ip_CI_unitstride_sbrr_C2R_dirReg
	.globl	fft_rtc_back_len810_factors_3_10_3_3_3_wgs_81_tpt_81_halfLds_dp_ip_CI_unitstride_sbrr_C2R_dirReg
	.p2align	8
	.type	fft_rtc_back_len810_factors_3_10_3_3_3_wgs_81_tpt_81_halfLds_dp_ip_CI_unitstride_sbrr_C2R_dirReg,@function
fft_rtc_back_len810_factors_3_10_3_3_3_wgs_81_tpt_81_halfLds_dp_ip_CI_unitstride_sbrr_C2R_dirReg: ; @fft_rtc_back_len810_factors_3_10_3_3_3_wgs_81_tpt_81_halfLds_dp_ip_CI_unitstride_sbrr_C2R_dirReg
; %bb.0:
	s_clause 0x2
	s_load_b128 s[4:7], s[0:1], 0x0
	s_load_b64 s[8:9], s[0:1], 0x50
	s_load_b64 s[10:11], s[0:1], 0x18
	v_mul_u32_u24_e32 v1, 0x32a, v0
	v_mov_b32_e32 v3, 0
	s_delay_alu instid0(VALU_DEP_2) | instskip(NEXT) | instid1(VALU_DEP_1)
	v_lshrrev_b32_e32 v1, 16, v1
	v_add_nc_u32_e32 v5, ttmp9, v1
	v_mov_b32_e32 v1, 0
	v_mov_b32_e32 v2, 0
	;; [unrolled: 1-line block ×3, first 2 shown]
	s_wait_kmcnt 0x0
	v_cmp_lt_u64_e64 s2, s[6:7], 2
	s_delay_alu instid0(VALU_DEP_1)
	s_and_b32 vcc_lo, exec_lo, s2
	s_cbranch_vccnz .LBB0_8
; %bb.1:
	s_load_b64 s[2:3], s[0:1], 0x10
	v_mov_b32_e32 v1, 0
	v_mov_b32_e32 v2, 0
	s_add_nc_u64 s[12:13], s[10:11], 8
	s_mov_b64 s[14:15], 1
	s_wait_kmcnt 0x0
	s_add_nc_u64 s[16:17], s[2:3], 8
	s_mov_b32 s3, 0
.LBB0_2:                                ; =>This Inner Loop Header: Depth=1
	s_load_b64 s[18:19], s[16:17], 0x0
                                        ; implicit-def: $vgpr7_vgpr8
	s_mov_b32 s2, exec_lo
	s_wait_kmcnt 0x0
	v_or_b32_e32 v4, s19, v6
	s_delay_alu instid0(VALU_DEP_1)
	v_cmpx_ne_u64_e32 0, v[3:4]
	s_wait_alu 0xfffe
	s_xor_b32 s20, exec_lo, s2
	s_cbranch_execz .LBB0_4
; %bb.3:                                ;   in Loop: Header=BB0_2 Depth=1
	s_cvt_f32_u32 s2, s18
	s_cvt_f32_u32 s21, s19
	s_sub_nc_u64 s[24:25], 0, s[18:19]
	s_wait_alu 0xfffe
	s_delay_alu instid0(SALU_CYCLE_1) | instskip(SKIP_1) | instid1(SALU_CYCLE_2)
	s_fmamk_f32 s2, s21, 0x4f800000, s2
	s_wait_alu 0xfffe
	v_s_rcp_f32 s2, s2
	s_delay_alu instid0(TRANS32_DEP_1) | instskip(SKIP_1) | instid1(SALU_CYCLE_2)
	s_mul_f32 s2, s2, 0x5f7ffffc
	s_wait_alu 0xfffe
	s_mul_f32 s21, s2, 0x2f800000
	s_wait_alu 0xfffe
	s_delay_alu instid0(SALU_CYCLE_2) | instskip(SKIP_1) | instid1(SALU_CYCLE_2)
	s_trunc_f32 s21, s21
	s_wait_alu 0xfffe
	s_fmamk_f32 s2, s21, 0xcf800000, s2
	s_cvt_u32_f32 s23, s21
	s_wait_alu 0xfffe
	s_delay_alu instid0(SALU_CYCLE_1) | instskip(SKIP_1) | instid1(SALU_CYCLE_2)
	s_cvt_u32_f32 s22, s2
	s_wait_alu 0xfffe
	s_mul_u64 s[26:27], s[24:25], s[22:23]
	s_wait_alu 0xfffe
	s_mul_hi_u32 s29, s22, s27
	s_mul_i32 s28, s22, s27
	s_mul_hi_u32 s2, s22, s26
	s_mul_i32 s30, s23, s26
	s_wait_alu 0xfffe
	s_add_nc_u64 s[28:29], s[2:3], s[28:29]
	s_mul_hi_u32 s21, s23, s26
	s_mul_hi_u32 s31, s23, s27
	s_add_co_u32 s2, s28, s30
	s_wait_alu 0xfffe
	s_add_co_ci_u32 s2, s29, s21
	s_mul_i32 s26, s23, s27
	s_add_co_ci_u32 s27, s31, 0
	s_wait_alu 0xfffe
	s_add_nc_u64 s[26:27], s[2:3], s[26:27]
	s_wait_alu 0xfffe
	v_add_co_u32 v4, s2, s22, s26
	s_delay_alu instid0(VALU_DEP_1) | instskip(SKIP_1) | instid1(VALU_DEP_1)
	s_cmp_lg_u32 s2, 0
	s_add_co_ci_u32 s23, s23, s27
	v_readfirstlane_b32 s22, v4
	s_wait_alu 0xfffe
	s_delay_alu instid0(VALU_DEP_1)
	s_mul_u64 s[24:25], s[24:25], s[22:23]
	s_wait_alu 0xfffe
	s_mul_hi_u32 s27, s22, s25
	s_mul_i32 s26, s22, s25
	s_mul_hi_u32 s2, s22, s24
	s_mul_i32 s28, s23, s24
	s_wait_alu 0xfffe
	s_add_nc_u64 s[26:27], s[2:3], s[26:27]
	s_mul_hi_u32 s21, s23, s24
	s_mul_hi_u32 s22, s23, s25
	s_wait_alu 0xfffe
	s_add_co_u32 s2, s26, s28
	s_add_co_ci_u32 s2, s27, s21
	s_mul_i32 s24, s23, s25
	s_add_co_ci_u32 s25, s22, 0
	s_wait_alu 0xfffe
	s_add_nc_u64 s[24:25], s[2:3], s[24:25]
	s_wait_alu 0xfffe
	v_add_co_u32 v4, s2, v4, s24
	s_delay_alu instid0(VALU_DEP_1) | instskip(SKIP_1) | instid1(VALU_DEP_1)
	s_cmp_lg_u32 s2, 0
	s_add_co_ci_u32 s2, s23, s25
	v_mul_hi_u32 v13, v5, v4
	s_wait_alu 0xfffe
	v_mad_co_u64_u32 v[7:8], null, v5, s2, 0
	v_mad_co_u64_u32 v[9:10], null, v6, v4, 0
	;; [unrolled: 1-line block ×3, first 2 shown]
	s_delay_alu instid0(VALU_DEP_3) | instskip(SKIP_1) | instid1(VALU_DEP_4)
	v_add_co_u32 v4, vcc_lo, v13, v7
	s_wait_alu 0xfffd
	v_add_co_ci_u32_e32 v7, vcc_lo, 0, v8, vcc_lo
	s_delay_alu instid0(VALU_DEP_2) | instskip(SKIP_1) | instid1(VALU_DEP_2)
	v_add_co_u32 v4, vcc_lo, v4, v9
	s_wait_alu 0xfffd
	v_add_co_ci_u32_e32 v4, vcc_lo, v7, v10, vcc_lo
	s_wait_alu 0xfffd
	v_add_co_ci_u32_e32 v7, vcc_lo, 0, v12, vcc_lo
	s_delay_alu instid0(VALU_DEP_2) | instskip(SKIP_1) | instid1(VALU_DEP_2)
	v_add_co_u32 v4, vcc_lo, v4, v11
	s_wait_alu 0xfffd
	v_add_co_ci_u32_e32 v9, vcc_lo, 0, v7, vcc_lo
	s_delay_alu instid0(VALU_DEP_2) | instskip(SKIP_1) | instid1(VALU_DEP_3)
	v_mul_lo_u32 v10, s19, v4
	v_mad_co_u64_u32 v[7:8], null, s18, v4, 0
	v_mul_lo_u32 v11, s18, v9
	s_delay_alu instid0(VALU_DEP_2) | instskip(NEXT) | instid1(VALU_DEP_2)
	v_sub_co_u32 v7, vcc_lo, v5, v7
	v_add3_u32 v8, v8, v11, v10
	s_delay_alu instid0(VALU_DEP_1) | instskip(SKIP_1) | instid1(VALU_DEP_1)
	v_sub_nc_u32_e32 v10, v6, v8
	s_wait_alu 0xfffd
	v_subrev_co_ci_u32_e64 v10, s2, s19, v10, vcc_lo
	v_add_co_u32 v11, s2, v4, 2
	s_wait_alu 0xf1ff
	v_add_co_ci_u32_e64 v12, s2, 0, v9, s2
	v_sub_co_u32 v13, s2, v7, s18
	v_sub_co_ci_u32_e32 v8, vcc_lo, v6, v8, vcc_lo
	s_wait_alu 0xf1ff
	v_subrev_co_ci_u32_e64 v10, s2, 0, v10, s2
	s_delay_alu instid0(VALU_DEP_3) | instskip(NEXT) | instid1(VALU_DEP_3)
	v_cmp_le_u32_e32 vcc_lo, s18, v13
	v_cmp_eq_u32_e64 s2, s19, v8
	s_wait_alu 0xfffd
	v_cndmask_b32_e64 v13, 0, -1, vcc_lo
	v_cmp_le_u32_e32 vcc_lo, s19, v10
	s_wait_alu 0xfffd
	v_cndmask_b32_e64 v14, 0, -1, vcc_lo
	v_cmp_le_u32_e32 vcc_lo, s18, v7
	;; [unrolled: 3-line block ×3, first 2 shown]
	s_wait_alu 0xfffd
	v_cndmask_b32_e64 v15, 0, -1, vcc_lo
	v_cmp_eq_u32_e32 vcc_lo, s19, v10
	s_wait_alu 0xf1ff
	s_delay_alu instid0(VALU_DEP_2)
	v_cndmask_b32_e64 v7, v15, v7, s2
	s_wait_alu 0xfffd
	v_cndmask_b32_e32 v10, v14, v13, vcc_lo
	v_add_co_u32 v13, vcc_lo, v4, 1
	s_wait_alu 0xfffd
	v_add_co_ci_u32_e32 v14, vcc_lo, 0, v9, vcc_lo
	s_delay_alu instid0(VALU_DEP_3) | instskip(SKIP_2) | instid1(VALU_DEP_3)
	v_cmp_ne_u32_e32 vcc_lo, 0, v10
	s_wait_alu 0xfffd
	v_cndmask_b32_e32 v10, v13, v11, vcc_lo
	v_cndmask_b32_e32 v8, v14, v12, vcc_lo
	v_cmp_ne_u32_e32 vcc_lo, 0, v7
	s_wait_alu 0xfffd
	s_delay_alu instid0(VALU_DEP_2)
	v_dual_cndmask_b32 v7, v4, v10 :: v_dual_cndmask_b32 v8, v9, v8
.LBB0_4:                                ;   in Loop: Header=BB0_2 Depth=1
	s_wait_alu 0xfffe
	s_and_not1_saveexec_b32 s2, s20
	s_cbranch_execz .LBB0_6
; %bb.5:                                ;   in Loop: Header=BB0_2 Depth=1
	v_cvt_f32_u32_e32 v4, s18
	s_sub_co_i32 s20, 0, s18
	s_delay_alu instid0(VALU_DEP_1) | instskip(NEXT) | instid1(TRANS32_DEP_1)
	v_rcp_iflag_f32_e32 v4, v4
	v_mul_f32_e32 v4, 0x4f7ffffe, v4
	s_delay_alu instid0(VALU_DEP_1) | instskip(SKIP_1) | instid1(VALU_DEP_1)
	v_cvt_u32_f32_e32 v4, v4
	s_wait_alu 0xfffe
	v_mul_lo_u32 v7, s20, v4
	s_delay_alu instid0(VALU_DEP_1) | instskip(NEXT) | instid1(VALU_DEP_1)
	v_mul_hi_u32 v7, v4, v7
	v_add_nc_u32_e32 v4, v4, v7
	s_delay_alu instid0(VALU_DEP_1) | instskip(NEXT) | instid1(VALU_DEP_1)
	v_mul_hi_u32 v4, v5, v4
	v_mul_lo_u32 v7, v4, s18
	v_add_nc_u32_e32 v8, 1, v4
	s_delay_alu instid0(VALU_DEP_2) | instskip(NEXT) | instid1(VALU_DEP_1)
	v_sub_nc_u32_e32 v7, v5, v7
	v_subrev_nc_u32_e32 v9, s18, v7
	v_cmp_le_u32_e32 vcc_lo, s18, v7
	s_wait_alu 0xfffd
	s_delay_alu instid0(VALU_DEP_2) | instskip(NEXT) | instid1(VALU_DEP_1)
	v_dual_cndmask_b32 v7, v7, v9 :: v_dual_cndmask_b32 v4, v4, v8
	v_cmp_le_u32_e32 vcc_lo, s18, v7
	s_delay_alu instid0(VALU_DEP_2) | instskip(SKIP_1) | instid1(VALU_DEP_1)
	v_add_nc_u32_e32 v8, 1, v4
	s_wait_alu 0xfffd
	v_dual_cndmask_b32 v7, v4, v8 :: v_dual_mov_b32 v8, v3
.LBB0_6:                                ;   in Loop: Header=BB0_2 Depth=1
	s_wait_alu 0xfffe
	s_or_b32 exec_lo, exec_lo, s2
	s_load_b64 s[20:21], s[12:13], 0x0
	s_delay_alu instid0(VALU_DEP_1)
	v_mul_lo_u32 v4, v8, s18
	v_mul_lo_u32 v11, v7, s19
	v_mad_co_u64_u32 v[9:10], null, v7, s18, 0
	s_add_nc_u64 s[14:15], s[14:15], 1
	s_add_nc_u64 s[12:13], s[12:13], 8
	s_wait_alu 0xfffe
	v_cmp_ge_u64_e64 s2, s[14:15], s[6:7]
	s_add_nc_u64 s[16:17], s[16:17], 8
	s_delay_alu instid0(VALU_DEP_2) | instskip(NEXT) | instid1(VALU_DEP_3)
	v_add3_u32 v4, v10, v11, v4
	v_sub_co_u32 v5, vcc_lo, v5, v9
	s_wait_alu 0xfffd
	s_delay_alu instid0(VALU_DEP_2) | instskip(SKIP_3) | instid1(VALU_DEP_2)
	v_sub_co_ci_u32_e32 v4, vcc_lo, v6, v4, vcc_lo
	s_and_b32 vcc_lo, exec_lo, s2
	s_wait_kmcnt 0x0
	v_mul_lo_u32 v6, s21, v5
	v_mul_lo_u32 v4, s20, v4
	v_mad_co_u64_u32 v[1:2], null, s20, v5, v[1:2]
	s_delay_alu instid0(VALU_DEP_1)
	v_add3_u32 v2, v6, v2, v4
	s_wait_alu 0xfffe
	s_cbranch_vccnz .LBB0_9
; %bb.7:                                ;   in Loop: Header=BB0_2 Depth=1
	v_dual_mov_b32 v5, v7 :: v_dual_mov_b32 v6, v8
	s_branch .LBB0_2
.LBB0_8:
	v_dual_mov_b32 v8, v6 :: v_dual_mov_b32 v7, v5
.LBB0_9:
	s_lshl_b64 s[2:3], s[6:7], 3
	v_mul_hi_u32 v5, 0x3291620, v0
	s_wait_alu 0xfffe
	s_add_nc_u64 s[2:3], s[10:11], s[2:3]
	s_load_b64 s[2:3], s[2:3], 0x0
	s_load_b64 s[0:1], s[0:1], 0x20
	s_wait_kmcnt 0x0
	v_mul_lo_u32 v3, s2, v8
	v_mul_lo_u32 v4, s3, v7
	v_mad_co_u64_u32 v[1:2], null, s2, v7, v[1:2]
	v_cmp_gt_u64_e32 vcc_lo, s[0:1], v[7:8]
	s_delay_alu instid0(VALU_DEP_2) | instskip(SKIP_1) | instid1(VALU_DEP_2)
	v_add3_u32 v2, v4, v2, v3
	v_mul_u32_u24_e32 v3, 0x51, v5
	v_lshlrev_b64_e32 v[50:51], 4, v[1:2]
	s_delay_alu instid0(VALU_DEP_2)
	v_sub_nc_u32_e32 v48, v0, v3
	s_and_saveexec_b32 s1, vcc_lo
	s_cbranch_execz .LBB0_13
; %bb.10:
	v_mov_b32_e32 v49, 0
	s_delay_alu instid0(VALU_DEP_3) | instskip(SKIP_2) | instid1(VALU_DEP_3)
	v_add_co_u32 v0, s0, s8, v50
	s_wait_alu 0xf1ff
	v_add_co_ci_u32_e64 v1, s0, s9, v51, s0
	v_lshlrev_b64_e32 v[2:3], 4, v[48:49]
	v_lshl_add_u32 v42, v48, 4, 0
	s_mov_b32 s2, exec_lo
	s_delay_alu instid0(VALU_DEP_2) | instskip(SKIP_1) | instid1(VALU_DEP_3)
	v_add_co_u32 v38, s0, v0, v2
	s_wait_alu 0xf1ff
	v_add_co_ci_u32_e64 v39, s0, v1, v3, s0
	s_clause 0x9
	global_load_b128 v[2:5], v[38:39], off
	global_load_b128 v[6:9], v[38:39], off offset:1296
	global_load_b128 v[10:13], v[38:39], off offset:2592
	;; [unrolled: 1-line block ×9, first 2 shown]
	s_wait_loadcnt 0x9
	ds_store_b128 v42, v[2:5]
	s_wait_loadcnt 0x8
	ds_store_b128 v42, v[6:9] offset:1296
	s_wait_loadcnt 0x7
	ds_store_b128 v42, v[10:13] offset:2592
	;; [unrolled: 2-line block ×9, first 2 shown]
	v_cmpx_eq_u32_e32 0x50, v48
	s_cbranch_execz .LBB0_12
; %bb.11:
	global_load_b128 v[0:3], v[0:1], off offset:12960
	v_mov_b32_e32 v48, 0x50
	s_wait_loadcnt 0x0
	ds_store_b128 v49, v[0:3] offset:12960
.LBB0_12:
	s_wait_alu 0xfffe
	s_or_b32 exec_lo, exec_lo, s2
.LBB0_13:
	s_wait_alu 0xfffe
	s_or_b32 exec_lo, exec_lo, s1
	v_lshlrev_b32_e32 v0, 4, v48
	global_wb scope:SCOPE_SE
	s_wait_dscnt 0x0
	s_barrier_signal -1
	s_barrier_wait -1
	global_inv scope:SCOPE_SE
	v_add_nc_u32_e32 v56, 0, v0
	v_sub_nc_u32_e32 v10, 0, v0
	s_mov_b32 s1, exec_lo
                                        ; implicit-def: $vgpr4_vgpr5
	ds_load_b64 v[6:7], v56
	ds_load_b64 v[8:9], v10 offset:12960
	s_wait_dscnt 0x0
	v_add_f64_e32 v[0:1], v[6:7], v[8:9]
	v_add_f64_e64 v[2:3], v[6:7], -v[8:9]
	v_cmpx_ne_u32_e32 0, v48
	s_wait_alu 0xfffe
	s_xor_b32 s1, exec_lo, s1
	s_cbranch_execz .LBB0_15
; %bb.14:
	v_mov_b32_e32 v49, 0
	v_add_f64_e32 v[13:14], v[6:7], v[8:9]
	v_add_f64_e64 v[15:16], v[6:7], -v[8:9]
	s_delay_alu instid0(VALU_DEP_3) | instskip(NEXT) | instid1(VALU_DEP_1)
	v_lshlrev_b64_e32 v[0:1], 4, v[48:49]
	v_add_co_u32 v0, s0, s4, v0
	s_wait_alu 0xf1ff
	s_delay_alu instid0(VALU_DEP_2)
	v_add_co_ci_u32_e64 v1, s0, s5, v1, s0
	global_load_b128 v[2:5], v[0:1], off offset:12912
	ds_load_b64 v[0:1], v10 offset:12968
	ds_load_b64 v[11:12], v56 offset:8
	s_wait_dscnt 0x0
	v_add_f64_e32 v[6:7], v[0:1], v[11:12]
	v_add_f64_e64 v[0:1], v[11:12], -v[0:1]
	s_wait_loadcnt 0x0
	v_fma_f64 v[8:9], v[15:16], v[4:5], v[13:14]
	v_fma_f64 v[11:12], -v[15:16], v[4:5], v[13:14]
	s_delay_alu instid0(VALU_DEP_3) | instskip(SKIP_1) | instid1(VALU_DEP_4)
	v_fma_f64 v[13:14], v[6:7], v[4:5], -v[0:1]
	v_fma_f64 v[4:5], v[6:7], v[4:5], v[0:1]
	v_fma_f64 v[0:1], -v[6:7], v[2:3], v[8:9]
	s_delay_alu instid0(VALU_DEP_4) | instskip(NEXT) | instid1(VALU_DEP_4)
	v_fma_f64 v[6:7], v[6:7], v[2:3], v[11:12]
	v_fma_f64 v[8:9], v[15:16], v[2:3], v[13:14]
	s_delay_alu instid0(VALU_DEP_4)
	v_fma_f64 v[2:3], v[15:16], v[2:3], v[4:5]
	v_dual_mov_b32 v4, v48 :: v_dual_mov_b32 v5, v49
	ds_store_b128 v10, v[6:9] offset:12960
.LBB0_15:
	s_wait_alu 0xfffe
	s_and_not1_saveexec_b32 s0, s1
	s_cbranch_execz .LBB0_17
; %bb.16:
	v_mov_b32_e32 v8, 0
	ds_load_b128 v[4:7], v8 offset:6480
	s_wait_dscnt 0x0
	v_add_f64_e32 v[11:12], v[4:5], v[4:5]
	v_mul_f64_e32 v[13:14], -2.0, v[6:7]
	v_mov_b32_e32 v4, 0
	v_mov_b32_e32 v5, 0
	ds_store_b128 v8, v[11:14] offset:6480
.LBB0_17:
	s_wait_alu 0xfffe
	s_or_b32 exec_lo, exec_lo, s0
	v_lshlrev_b64_e32 v[4:5], 4, v[4:5]
	s_add_nc_u64 s[0:1], s[4:5], 0x3270
	s_mov_b32 s3, 0x3febb67a
	s_wait_alu 0xfffe
	s_delay_alu instid0(VALU_DEP_1)
	v_add_co_u32 v23, s0, s0, v4
	s_wait_alu 0xf1ff
	v_add_co_ci_u32_e64 v24, s0, s1, v5, s0
	s_mov_b32 s0, 0xe8584caa
	s_mov_b32 s1, 0xbfebb67a
	s_wait_alu 0xfffe
	s_mov_b32 s2, s0
	s_clause 0x1
	global_load_b128 v[4:7], v[23:24], off offset:1296
	global_load_b128 v[11:14], v[23:24], off offset:2592
	ds_store_b128 v56, v[0:3]
	ds_load_b128 v[0:3], v56 offset:1296
	ds_load_b128 v[15:18], v10 offset:11664
	global_load_b128 v[19:22], v[23:24], off offset:3888
	s_wait_dscnt 0x0
	v_add_f64_e32 v[8:9], v[0:1], v[15:16]
	v_add_f64_e32 v[25:26], v[17:18], v[2:3]
	v_add_f64_e64 v[15:16], v[0:1], -v[15:16]
	v_add_f64_e64 v[0:1], v[2:3], -v[17:18]
	s_wait_loadcnt 0x2
	s_delay_alu instid0(VALU_DEP_2) | instskip(NEXT) | instid1(VALU_DEP_2)
	v_fma_f64 v[2:3], v[15:16], v[6:7], v[8:9]
	v_fma_f64 v[17:18], v[25:26], v[6:7], v[0:1]
	v_fma_f64 v[8:9], -v[15:16], v[6:7], v[8:9]
	v_fma_f64 v[27:28], v[25:26], v[6:7], -v[0:1]
	s_delay_alu instid0(VALU_DEP_4) | instskip(NEXT) | instid1(VALU_DEP_4)
	v_fma_f64 v[0:1], -v[25:26], v[4:5], v[2:3]
	v_fma_f64 v[2:3], v[15:16], v[4:5], v[17:18]
	s_delay_alu instid0(VALU_DEP_4) | instskip(NEXT) | instid1(VALU_DEP_4)
	v_fma_f64 v[6:7], v[25:26], v[4:5], v[8:9]
	v_fma_f64 v[8:9], v[15:16], v[4:5], v[27:28]
	ds_store_b128 v56, v[0:3] offset:1296
	ds_store_b128 v10, v[6:9] offset:11664
	ds_load_b128 v[0:3], v56 offset:2592
	ds_load_b128 v[4:7], v10 offset:10368
	global_load_b128 v[15:18], v[23:24], off offset:5184
	s_wait_dscnt 0x0
	v_add_f64_e32 v[8:9], v[0:1], v[4:5]
	v_add_f64_e32 v[23:24], v[6:7], v[2:3]
	v_add_f64_e64 v[25:26], v[0:1], -v[4:5]
	v_add_f64_e64 v[0:1], v[2:3], -v[6:7]
	s_wait_loadcnt 0x2
	s_delay_alu instid0(VALU_DEP_2) | instskip(NEXT) | instid1(VALU_DEP_2)
	v_fma_f64 v[2:3], v[25:26], v[13:14], v[8:9]
	v_fma_f64 v[4:5], v[23:24], v[13:14], v[0:1]
	v_fma_f64 v[6:7], -v[25:26], v[13:14], v[8:9]
	v_fma_f64 v[8:9], v[23:24], v[13:14], -v[0:1]
	s_delay_alu instid0(VALU_DEP_4) | instskip(NEXT) | instid1(VALU_DEP_4)
	v_fma_f64 v[0:1], -v[23:24], v[11:12], v[2:3]
	v_fma_f64 v[2:3], v[25:26], v[11:12], v[4:5]
	s_delay_alu instid0(VALU_DEP_4) | instskip(NEXT) | instid1(VALU_DEP_4)
	v_fma_f64 v[4:5], v[23:24], v[11:12], v[6:7]
	v_fma_f64 v[6:7], v[25:26], v[11:12], v[8:9]
	ds_store_b128 v56, v[0:3] offset:2592
	ds_store_b128 v10, v[4:7] offset:10368
	ds_load_b128 v[0:3], v56 offset:3888
	ds_load_b128 v[4:7], v10 offset:9072
	s_wait_dscnt 0x0
	v_add_f64_e32 v[8:9], v[0:1], v[4:5]
	v_add_f64_e32 v[11:12], v[6:7], v[2:3]
	v_add_f64_e64 v[13:14], v[0:1], -v[4:5]
	v_add_f64_e64 v[0:1], v[2:3], -v[6:7]
	s_wait_loadcnt 0x1
	s_delay_alu instid0(VALU_DEP_2) | instskip(NEXT) | instid1(VALU_DEP_2)
	v_fma_f64 v[2:3], v[13:14], v[21:22], v[8:9]
	v_fma_f64 v[4:5], v[11:12], v[21:22], v[0:1]
	v_fma_f64 v[6:7], -v[13:14], v[21:22], v[8:9]
	v_fma_f64 v[8:9], v[11:12], v[21:22], -v[0:1]
	s_delay_alu instid0(VALU_DEP_4) | instskip(NEXT) | instid1(VALU_DEP_4)
	v_fma_f64 v[0:1], -v[11:12], v[19:20], v[2:3]
	v_fma_f64 v[2:3], v[13:14], v[19:20], v[4:5]
	s_delay_alu instid0(VALU_DEP_4) | instskip(NEXT) | instid1(VALU_DEP_4)
	v_fma_f64 v[4:5], v[11:12], v[19:20], v[6:7]
	v_fma_f64 v[6:7], v[13:14], v[19:20], v[8:9]
	ds_store_b128 v56, v[0:3] offset:3888
	ds_store_b128 v10, v[4:7] offset:9072
	ds_load_b128 v[0:3], v56 offset:5184
	ds_load_b128 v[4:7], v10 offset:7776
	s_wait_dscnt 0x0
	v_add_f64_e32 v[8:9], v[0:1], v[4:5]
	v_add_f64_e32 v[11:12], v[6:7], v[2:3]
	v_add_f64_e64 v[13:14], v[0:1], -v[4:5]
	v_add_f64_e64 v[0:1], v[2:3], -v[6:7]
	s_wait_loadcnt 0x0
	s_delay_alu instid0(VALU_DEP_2) | instskip(NEXT) | instid1(VALU_DEP_2)
	v_fma_f64 v[2:3], v[13:14], v[17:18], v[8:9]
	v_fma_f64 v[4:5], v[11:12], v[17:18], v[0:1]
	v_fma_f64 v[6:7], -v[13:14], v[17:18], v[8:9]
	v_fma_f64 v[8:9], v[11:12], v[17:18], -v[0:1]
	s_delay_alu instid0(VALU_DEP_4) | instskip(NEXT) | instid1(VALU_DEP_4)
	v_fma_f64 v[0:1], -v[11:12], v[15:16], v[2:3]
	v_fma_f64 v[2:3], v[13:14], v[15:16], v[4:5]
	s_delay_alu instid0(VALU_DEP_4) | instskip(NEXT) | instid1(VALU_DEP_4)
	v_fma_f64 v[4:5], v[11:12], v[15:16], v[6:7]
	v_fma_f64 v[6:7], v[13:14], v[15:16], v[8:9]
	ds_store_b128 v56, v[0:3] offset:5184
	ds_store_b128 v10, v[4:7] offset:7776
	global_wb scope:SCOPE_SE
	s_wait_dscnt 0x0
	s_barrier_signal -1
	s_barrier_wait -1
	global_inv scope:SCOPE_SE
	global_wb scope:SCOPE_SE
	s_barrier_signal -1
	s_barrier_wait -1
	global_inv scope:SCOPE_SE
	ds_load_b128 v[0:3], v56 offset:8640
	ds_load_b128 v[4:7], v56 offset:4320
	;; [unrolled: 1-line block ×8, first 2 shown]
	ds_load_b128 v[36:39], v56
	ds_load_b128 v[40:43], v56 offset:1296
	ds_load_b128 v[44:47], v56 offset:2592
	;; [unrolled: 1-line block ×3, first 2 shown]
	global_wb scope:SCOPE_SE
	s_wait_dscnt 0x0
	s_barrier_signal -1
	s_barrier_wait -1
	global_inv scope:SCOPE_SE
	v_add_f64_e32 v[54:55], v[6:7], v[2:3]
	v_add_f64_e32 v[52:53], v[4:5], v[0:1]
	;; [unrolled: 1-line block ×9, first 2 shown]
	v_add_f64_e64 v[71:72], v[6:7], -v[2:3]
	v_add_f64_e32 v[6:7], v[38:39], v[6:7]
	v_add_f64_e64 v[4:5], v[4:5], -v[0:1]
	v_add_f64_e64 v[89:90], v[10:11], -v[14:15]
	;; [unrolled: 1-line block ×3, first 2 shown]
	v_add_f64_e32 v[73:74], v[40:41], v[20:21]
	v_add_f64_e32 v[75:76], v[42:43], v[22:23]
	v_add_f64_e64 v[81:82], v[22:23], -v[26:27]
	v_add_f64_e64 v[83:84], v[20:21], -v[24:25]
	v_add_f64_e32 v[77:78], v[44:45], v[32:33]
	v_add_f64_e32 v[79:80], v[46:47], v[34:35]
	v_add_f64_e64 v[85:86], v[34:35], -v[30:31]
	v_add_f64_e64 v[87:88], v[32:33], -v[28:29]
	v_lshlrev_b32_e32 v20, 5, v48
	s_delay_alu instid0(VALU_DEP_1)
	v_add_nc_u32_e32 v20, v56, v20
	v_fma_f64 v[54:55], v[54:55], -0.5, v[38:39]
	v_fma_f64 v[52:53], v[52:53], -0.5, v[36:37]
	;; [unrolled: 1-line block ×8, first 2 shown]
	v_add_f64_e32 v[32:33], v[69:70], v[0:1]
	v_add_f64_e32 v[34:35], v[6:7], v[2:3]
	;; [unrolled: 1-line block ×6, first 2 shown]
	s_wait_alu 0xfffe
	v_fma_f64 v[38:39], v[4:5], s[2:3], v[54:55]
	v_fma_f64 v[42:43], v[4:5], s[0:1], v[54:55]
	;; [unrolled: 1-line block ×16, first 2 shown]
	v_cmp_gt_u32_e64 s0, 27, v48
	ds_store_b128 v20, v[32:35]
	ds_store_b128 v20, v[36:39] offset:16
	ds_store_b128 v20, v[40:43] offset:32
	;; [unrolled: 1-line block ×8, first 2 shown]
	s_and_saveexec_b32 s1, s0
	s_cbranch_execz .LBB0_19
; %bb.18:
	v_add_f64_e32 v[10:11], v[18:19], v[10:11]
	v_add_f64_e32 v[8:9], v[16:17], v[8:9]
	s_delay_alu instid0(VALU_DEP_2) | instskip(NEXT) | instid1(VALU_DEP_2)
	v_add_f64_e32 v[10:11], v[10:11], v[14:15]
	v_add_f64_e32 v[8:9], v[8:9], v[12:13]
	ds_store_b128 v20, v[8:11] offset:11664
	ds_store_b128 v20, v[0:3] offset:11680
	;; [unrolled: 1-line block ×3, first 2 shown]
.LBB0_19:
	s_wait_alu 0xfffe
	s_or_b32 exec_lo, exec_lo, s1
	v_and_b32_e32 v49, 0xff, v48
	global_wb scope:SCOPE_SE
	s_wait_dscnt 0x0
	s_barrier_signal -1
	s_barrier_wait -1
	global_inv scope:SCOPE_SE
	v_mul_lo_u16 v8, 0xab, v49
	s_mov_b32 s10, 0x134454ff
	s_mov_b32 s11, 0xbfee6f0e
	;; [unrolled: 1-line block ×4, first 2 shown]
	v_lshrrev_b16 v12, 9, v8
	s_mov_b32 s12, 0x4755a5e
	s_mov_b32 s13, 0xbfe2cf23
	;; [unrolled: 1-line block ×4, first 2 shown]
	v_mul_lo_u16 v8, v12, 3
	s_mov_b32 s14, 0x372fe950
	s_mov_b32 s15, 0x3fd3c6ef
	;; [unrolled: 1-line block ×4, first 2 shown]
	v_sub_nc_u16 v8, v48, v8
	s_mov_b32 s19, 0xbfd3c6ef
	s_wait_alu 0xfffe
	s_mov_b32 s18, s14
	s_mov_b32 s21, 0xbfe9e377
	s_mov_b32 s20, s16
	v_and_b32_e32 v13, 0xff, v8
	v_and_b32_e32 v12, 0xffff, v12
	s_delay_alu instid0(VALU_DEP_2) | instskip(NEXT) | instid1(VALU_DEP_2)
	v_mul_u32_u24_e32 v8, 9, v13
	v_mul_u32_u24_e32 v12, 0x1e0, v12
	v_lshlrev_b32_e32 v13, 4, v13
	s_delay_alu instid0(VALU_DEP_3)
	v_lshlrev_b32_e32 v42, 4, v8
	s_clause 0x8
	global_load_b128 v[8:11], v42, s[4:5] offset:32
	global_load_b128 v[14:17], v42, s[4:5] offset:128
	;; [unrolled: 1-line block ×4, first 2 shown]
	global_load_b128 v[26:29], v42, s[4:5]
	global_load_b128 v[30:33], v42, s[4:5] offset:16
	global_load_b128 v[34:37], v42, s[4:5] offset:48
	;; [unrolled: 1-line block ×4, first 2 shown]
	ds_load_b128 v[52:55], v56 offset:3888
	ds_load_b128 v[57:60], v56 offset:11664
	;; [unrolled: 1-line block ×7, first 2 shown]
	ds_load_b128 v[81:84], v56
	v_add3_u32 v12, 0, v12, v13
	s_wait_loadcnt_dscnt 0x807
	v_mul_f64_e32 v[46:47], v[52:53], v[10:11]
	s_wait_loadcnt_dscnt 0x706
	v_mul_f64_e32 v[85:86], v[57:58], v[16:17]
	;; [unrolled: 2-line block ×4, first 2 shown]
	v_mul_f64_e32 v[10:11], v[54:55], v[10:11]
	v_mul_f64_e32 v[20:21], v[63:64], v[20:21]
	;; [unrolled: 1-line block ×4, first 2 shown]
	s_wait_loadcnt_dscnt 0x403
	v_mul_f64_e32 v[91:92], v[69:70], v[28:29]
	v_fma_f64 v[46:47], v[54:55], v[8:9], -v[46:47]
	v_fma_f64 v[59:60], v[59:60], v[14:15], -v[85:86]
	;; [unrolled: 1-line block ×4, first 2 shown]
	v_fma_f64 v[85:86], v[52:53], v[8:9], v[10:11]
	ds_load_b128 v[8:11], v56 offset:7776
	ds_load_b128 v[52:55], v56 offset:10368
	v_fma_f64 v[18:19], v[61:62], v[18:19], v[20:21]
	s_wait_loadcnt_dscnt 0x304
	v_mul_f64_e32 v[20:21], v[75:76], v[32:33]
	v_mul_f64_e32 v[32:33], v[73:74], v[32:33]
	s_wait_loadcnt_dscnt 0x203
	v_mul_f64_e32 v[61:62], v[79:80], v[36:37]
	v_mul_f64_e32 v[36:37], v[77:78], v[36:37]
	v_fma_f64 v[22:23], v[65:66], v[22:23], v[24:25]
	v_fma_f64 v[14:15], v[57:58], v[14:15], v[16:17]
	v_mul_f64_e32 v[16:17], v[71:72], v[28:29]
	v_fma_f64 v[28:29], v[71:72], v[26:27], -v[91:92]
	global_wb scope:SCOPE_SE
	s_wait_loadcnt_dscnt 0x0
	s_barrier_signal -1
	s_barrier_wait -1
	global_inv scope:SCOPE_SE
	v_mul_f64_e32 v[24:25], v[10:11], v[40:41]
	v_mul_f64_e32 v[65:66], v[54:55], v[44:45]
	;; [unrolled: 1-line block ×4, first 2 shown]
	v_add_f64_e32 v[57:58], v[46:47], v[59:60]
	v_add_f64_e32 v[71:72], v[63:64], v[67:68]
	v_add_f64_e64 v[91:92], v[85:86], -v[18:19]
	v_fma_f64 v[20:21], v[73:74], v[30:31], v[20:21]
	v_fma_f64 v[30:31], v[75:76], v[30:31], -v[32:33]
	v_fma_f64 v[32:33], v[77:78], v[34:35], v[61:62]
	v_fma_f64 v[34:35], v[79:80], v[34:35], -v[36:37]
	v_add_f64_e64 v[73:74], v[63:64], -v[46:47]
	v_add_f64_e64 v[75:76], v[46:47], -v[59:60]
	v_fma_f64 v[16:17], v[69:70], v[26:27], v[16:17]
	v_add_f64_e32 v[26:27], v[18:19], v[22:23]
	v_add_f64_e64 v[69:70], v[46:47], -v[63:64]
	v_add_f64_e64 v[77:78], v[67:68], -v[59:60]
	;; [unrolled: 1-line block ×5, first 2 shown]
	v_fma_f64 v[8:9], v[8:9], v[38:39], v[24:25]
	v_fma_f64 v[24:25], v[52:53], v[42:43], v[65:66]
	v_fma_f64 v[10:11], v[10:11], v[38:39], -v[40:41]
	v_fma_f64 v[36:37], v[54:55], v[42:43], -v[44:45]
	v_add_f64_e32 v[38:39], v[85:86], v[14:15]
	v_add_f64_e64 v[44:45], v[85:86], -v[14:15]
	v_add_f64_e64 v[40:41], v[18:19], -v[22:23]
	v_fma_f64 v[42:43], v[57:58], -0.5, v[28:29]
	v_fma_f64 v[52:53], v[71:72], -0.5, v[28:29]
	v_add_f64_e64 v[71:72], v[59:60], -v[67:68]
	v_add_f64_e32 v[28:29], v[28:29], v[46:47]
	v_add_f64_e32 v[97:98], v[81:82], v[20:21]
	;; [unrolled: 1-line block ×3, first 2 shown]
	v_fma_f64 v[26:27], v[26:27], -0.5, v[16:17]
	v_add_f64_e32 v[91:92], v[91:92], v[93:94]
	v_add_f64_e32 v[54:55], v[32:33], v[8:9]
	;; [unrolled: 1-line block ×5, first 2 shown]
	v_fma_f64 v[38:39], v[38:39], -0.5, v[16:17]
	v_add_f64_e32 v[16:17], v[16:17], v[85:86]
	v_add_f64_e64 v[85:86], v[18:19], -v[85:86]
	v_add_f64_e64 v[46:47], v[30:31], -v[36:37]
	v_add_f64_e64 v[93:94], v[8:9], -v[24:25]
	v_fma_f64 v[87:88], v[40:41], s[10:11], v[42:43]
	v_fma_f64 v[42:43], v[40:41], s[2:3], v[42:43]
	;; [unrolled: 1-line block ×4, first 2 shown]
	v_add_f64_e32 v[69:70], v[69:70], v[71:72]
	v_add_f64_e32 v[71:72], v[73:74], v[77:78]
	v_add_f64_e64 v[77:78], v[20:21], -v[24:25]
	v_add_f64_e32 v[28:29], v[28:29], v[63:64]
	v_add_f64_e64 v[63:64], v[36:37], -v[10:11]
	v_fma_f64 v[54:55], v[54:55], -0.5, v[81:82]
	v_fma_f64 v[57:58], v[57:58], -0.5, v[81:82]
	;; [unrolled: 1-line block ×4, first 2 shown]
	v_fma_f64 v[83:84], v[75:76], s[10:11], v[26:27]
	v_fma_f64 v[73:74], v[79:80], s[2:3], v[38:39]
	;; [unrolled: 1-line block ×3, first 2 shown]
	v_add_f64_e64 v[81:82], v[34:35], -v[10:11]
	v_fma_f64 v[26:27], v[75:76], s[2:3], v[26:27]
	v_add_f64_e32 v[16:17], v[16:17], v[18:19]
	v_add_f64_e32 v[85:86], v[85:86], v[95:96]
	v_add_f64_e64 v[95:96], v[30:31], -v[34:35]
	v_add_f64_e64 v[30:31], v[34:35], -v[30:31]
	v_add_f64_e32 v[34:35], v[99:100], v[34:35]
	v_add_f64_e64 v[18:19], v[24:25], -v[8:9]
	v_fma_f64 v[87:88], v[44:45], s[6:7], v[87:88]
	v_fma_f64 v[42:43], v[44:45], s[12:13], v[42:43]
	v_fma_f64 v[89:90], v[40:41], s[6:7], v[89:90]
	v_add_f64_e64 v[44:45], v[32:33], -v[8:9]
	v_fma_f64 v[40:41], v[40:41], s[12:13], v[52:53]
	v_add_f64_e64 v[52:53], v[20:21], -v[32:33]
	v_add_f64_e64 v[20:21], v[32:33], -v[20:21]
	v_add_f64_e32 v[32:33], v[97:98], v[32:33]
	v_add_f64_e64 v[99:100], v[10:11], -v[36:37]
	v_fma_f64 v[97:98], v[46:47], s[10:11], v[54:55]
	v_fma_f64 v[54:55], v[46:47], s[2:3], v[54:55]
	;; [unrolled: 1-line block ×10, first 2 shown]
	v_add_f64_e32 v[16:17], v[16:17], v[22:23]
	v_add_f64_e32 v[10:11], v[34:35], v[10:11]
	;; [unrolled: 1-line block ×3, first 2 shown]
	v_fma_f64 v[87:88], v[71:72], s[14:15], v[87:88]
	v_fma_f64 v[42:43], v[71:72], s[14:15], v[42:43]
	;; [unrolled: 1-line block ×6, first 2 shown]
	v_add_f64_e32 v[18:19], v[52:53], v[18:19]
	v_add_f64_e32 v[8:9], v[32:33], v[8:9]
	;; [unrolled: 1-line block ×5, first 2 shown]
	v_fma_f64 v[28:29], v[81:82], s[12:13], v[97:98]
	v_fma_f64 v[32:33], v[81:82], s[6:7], v[54:55]
	;; [unrolled: 1-line block ×9, first 2 shown]
	v_add_f64_e32 v[10:11], v[10:11], v[36:37]
	v_add_f64_e32 v[22:23], v[22:23], v[59:60]
	v_mul_f64_e32 v[69:70], s[10:11], v[87:88]
	v_mul_f64_e32 v[67:68], s[12:13], v[89:90]
	v_mul_f64_e32 v[75:76], s[16:17], v[89:90]
	v_fma_f64 v[57:58], v[77:78], s[6:7], v[71:72]
	v_fma_f64 v[61:62], v[77:78], s[12:13], v[65:66]
	;; [unrolled: 1-line block ×3, first 2 shown]
	v_mul_f64_e32 v[77:78], s[14:15], v[87:88]
	v_mul_f64_e32 v[71:72], s[10:11], v[42:43]
	s_wait_alu 0xfffe
	v_mul_f64_e32 v[42:43], s[18:19], v[42:43]
	v_mul_f64_e32 v[73:74], s[12:13], v[40:41]
	;; [unrolled: 1-line block ×3, first 2 shown]
	v_add_f64_e32 v[8:9], v[8:9], v[24:25]
	v_add_f64_e32 v[24:25], v[16:17], v[14:15]
	v_fma_f64 v[59:60], v[18:19], s[14:15], v[28:29]
	v_fma_f64 v[79:80], v[18:19], s[14:15], v[32:33]
	;; [unrolled: 1-line block ×6, first 2 shown]
	v_add_f64_e32 v[16:17], v[10:11], v[22:23]
	v_add_f64_e64 v[20:21], v[10:11], -v[22:23]
	v_fma_f64 v[52:53], v[63:64], s[16:17], v[67:68]
	v_fma_f64 v[63:64], v[63:64], s[6:7], v[75:76]
	;; [unrolled: 1-line block ×10, first 2 shown]
	v_add_f64_e32 v[14:15], v[8:9], v[24:25]
	v_add_f64_e64 v[18:19], v[8:9], -v[24:25]
	v_add_f64_e32 v[22:23], v[59:60], v[52:53]
	v_add_f64_e32 v[24:25], v[54:55], v[63:64]
	v_add_f64_e64 v[38:39], v[59:60], -v[52:53]
	v_add_f64_e64 v[40:41], v[54:55], -v[63:64]
	v_add_f64_e32 v[26:27], v[81:82], v[61:62]
	v_add_f64_e32 v[28:29], v[44:45], v[65:66]
	;; [unrolled: 1-line block ×6, first 2 shown]
	v_add_f64_e64 v[42:43], v[81:82], -v[61:62]
	v_add_f64_e64 v[44:45], v[44:45], -v[65:66]
	;; [unrolled: 1-line block ×6, first 2 shown]
	ds_store_b128 v12, v[14:17]
	ds_store_b128 v12, v[22:25] offset:48
	ds_store_b128 v12, v[26:29] offset:96
	;; [unrolled: 1-line block ×9, first 2 shown]
	global_wb scope:SCOPE_SE
	s_wait_dscnt 0x0
	s_barrier_signal -1
	s_barrier_wait -1
	global_inv scope:SCOPE_SE
	ds_load_b128 v[16:19], v56
	ds_load_b128 v[12:15], v56 offset:1296
	ds_load_b128 v[40:43], v56 offset:8640
	;; [unrolled: 1-line block ×8, first 2 shown]
	s_and_saveexec_b32 s1, s0
	s_cbranch_execz .LBB0_21
; %bb.20:
	ds_load_b128 v[8:11], v56 offset:3888
	ds_load_b128 v[0:3], v56 offset:8208
	;; [unrolled: 1-line block ×3, first 2 shown]
.LBB0_21:
	s_wait_alu 0xfffe
	s_or_b32 exec_lo, exec_lo, s1
	v_mul_lo_u16 v49, 0x89, v49
	v_add_nc_u32_e32 v54, 0x51, v48
	v_add_nc_u32_e32 v57, 0xa2, v48
	s_mov_b32 s2, 0xe8584caa
	s_mov_b32 s3, 0xbfebb67a
	v_lshrrev_b16 v53, 12, v49
	v_and_b32_e32 v52, 0xff, v54
	v_and_b32_e32 v55, 0xff, v57
	s_mov_b32 s7, 0x3febb67a
	s_wait_alu 0xfffe
	s_mov_b32 s6, s2
	v_mul_lo_u16 v49, v53, 30
	v_mul_lo_u16 v52, 0x89, v52
	;; [unrolled: 1-line block ×3, first 2 shown]
	v_and_b32_e32 v53, 0xffff, v53
	s_delay_alu instid0(VALU_DEP_4) | instskip(NEXT) | instid1(VALU_DEP_4)
	v_sub_nc_u16 v49, v48, v49
	v_lshrrev_b16 v104, 12, v52
	s_delay_alu instid0(VALU_DEP_4) | instskip(NEXT) | instid1(VALU_DEP_4)
	v_lshrrev_b16 v105, 12, v67
	v_mul_u32_u24_e32 v53, 0x5a0, v53
	s_delay_alu instid0(VALU_DEP_4) | instskip(SKIP_3) | instid1(VALU_DEP_4)
	v_and_b32_e32 v103, 0xff, v49
	v_add_nc_u32_e32 v49, 0xf3, v48
	v_mul_lo_u16 v67, v104, 30
	v_mul_lo_u16 v68, v105, 30
	v_lshlrev_b32_e32 v63, 5, v103
	s_delay_alu instid0(VALU_DEP_4) | instskip(NEXT) | instid1(VALU_DEP_4)
	v_and_b32_e32 v58, 0xffff, v49
	v_sub_nc_u16 v67, v54, v67
	s_delay_alu instid0(VALU_DEP_4)
	v_sub_nc_u16 v68, v57, v68
	s_clause 0x1
	global_load_b128 v[59:62], v63, s[4:5] offset:432
	global_load_b128 v[63:66], v63, s[4:5] offset:448
	v_mul_u32_u24_e32 v52, 0x8889, v58
	v_and_b32_e32 v106, 0xff, v67
	v_and_b32_e32 v107, 0xff, v68
	s_delay_alu instid0(VALU_DEP_3) | instskip(NEXT) | instid1(VALU_DEP_3)
	v_lshrrev_b32_e32 v52, 20, v52
	v_lshlrev_b32_e32 v71, 5, v106
	s_delay_alu instid0(VALU_DEP_3)
	v_lshlrev_b32_e32 v79, 5, v107
	s_clause 0x2
	global_load_b128 v[67:70], v71, s[4:5] offset:432
	global_load_b128 v[71:74], v71, s[4:5] offset:448
	;; [unrolled: 1-line block ×3, first 2 shown]
	v_mul_lo_u16 v52, v52, 30
	s_delay_alu instid0(VALU_DEP_1) | instskip(NEXT) | instid1(VALU_DEP_1)
	v_sub_nc_u16 v52, v49, v52
	v_and_b32_e32 v52, 0xffff, v52
	s_delay_alu instid0(VALU_DEP_1)
	v_lshlrev_b32_e32 v87, 5, v52
	s_clause 0x2
	global_load_b128 v[79:82], v79, s[4:5] offset:448
	global_load_b128 v[83:86], v87, s[4:5] offset:432
	;; [unrolled: 1-line block ×3, first 2 shown]
	global_wb scope:SCOPE_SE
	s_wait_loadcnt_dscnt 0x0
	s_barrier_signal -1
	s_barrier_wait -1
	global_inv scope:SCOPE_SE
	v_mul_f64_e32 v[91:92], v[46:47], v[61:62]
	v_mul_f64_e32 v[61:62], v[44:45], v[61:62]
	;; [unrolled: 1-line block ×11, first 2 shown]
	v_fma_f64 v[44:45], v[44:45], v[59:60], v[91:92]
	v_fma_f64 v[46:47], v[46:47], v[59:60], -v[61:62]
	v_mul_f64_e32 v[59:60], v[32:33], v[81:82]
	v_mul_f64_e32 v[61:62], v[2:3], v[85:86]
	;; [unrolled: 1-line block ×4, first 2 shown]
	v_fma_f64 v[40:41], v[40:41], v[63:64], v[93:94]
	v_fma_f64 v[42:43], v[42:43], v[63:64], -v[65:66]
	v_mul_f64_e32 v[63:64], v[4:5], v[89:90]
	v_fma_f64 v[36:37], v[36:37], v[67:68], v[95:96]
	v_fma_f64 v[38:39], v[38:39], v[67:68], -v[69:70]
	v_fma_f64 v[28:29], v[28:29], v[75:76], v[99:100]
	v_fma_f64 v[30:31], v[30:31], v[75:76], -v[77:78]
	;; [unrolled: 2-line block ×3, first 2 shown]
	v_fma_f64 v[32:33], v[32:33], v[79:80], v[101:102]
	v_add_f64_e32 v[75:76], v[16:17], v[44:45]
	v_add_f64_e32 v[77:78], v[18:19], v[46:47]
	v_fma_f64 v[34:35], v[34:35], v[79:80], -v[59:60]
	v_fma_f64 v[0:1], v[0:1], v[83:84], v[61:62]
	v_fma_f64 v[2:3], v[2:3], v[83:84], -v[81:82]
	v_fma_f64 v[59:60], v[4:5], v[87:88], v[85:86]
	v_add_f64_e32 v[4:5], v[44:45], v[40:41]
	v_add_f64_e64 v[44:45], v[44:45], -v[40:41]
	v_fma_f64 v[61:62], v[6:7], v[87:88], -v[63:64]
	v_add_f64_e32 v[6:7], v[46:47], v[42:43]
	v_add_f64_e64 v[46:47], v[46:47], -v[42:43]
	v_add_f64_e32 v[79:80], v[12:13], v[36:37]
	v_add_f64_e32 v[81:82], v[14:15], v[38:39]
	;; [unrolled: 1-line block ×6, first 2 shown]
	v_add_f64_e64 v[38:39], v[38:39], -v[26:27]
	v_add_f64_e64 v[91:92], v[36:37], -v[24:25]
	v_add_f64_e32 v[67:68], v[28:29], v[32:33]
	v_add_f64_e32 v[69:70], v[30:31], v[34:35]
	;; [unrolled: 1-line block ×5, first 2 shown]
	v_fma_f64 v[16:17], v[4:5], -0.5, v[16:17]
	v_add_f64_e64 v[93:94], v[30:31], -v[34:35]
	v_add_f64_e32 v[73:74], v[2:3], v[61:62]
	v_fma_f64 v[18:19], v[6:7], -0.5, v[18:19]
	v_add_f64_e64 v[95:96], v[0:1], -v[59:60]
	v_add_f64_e32 v[4:5], v[75:76], v[40:41]
	v_add_f64_e32 v[6:7], v[77:78], v[42:43]
	v_fma_f64 v[63:64], v[63:64], -0.5, v[12:13]
	v_fma_f64 v[65:66], v[65:66], -0.5, v[14:15]
	v_add_f64_e32 v[12:13], v[83:84], v[32:33]
	v_add_f64_e32 v[14:15], v[85:86], v[34:35]
	v_fma_f64 v[20:21], v[67:68], -0.5, v[20:21]
	v_add_f64_e64 v[67:68], v[28:29], -v[32:33]
	v_fma_f64 v[22:23], v[69:70], -0.5, v[22:23]
	v_add_f64_e64 v[69:70], v[2:3], -v[61:62]
	v_add_f64_e32 v[0:1], v[87:88], v[59:60]
	v_fma_f64 v[71:72], v[71:72], -0.5, v[8:9]
	v_add_f64_e32 v[8:9], v[79:80], v[24:25]
	v_add_f64_e32 v[2:3], v[89:90], v[61:62]
	v_fma_f64 v[73:74], v[73:74], -0.5, v[10:11]
	v_add_f64_e32 v[10:11], v[81:82], v[26:27]
	v_fma_f64 v[24:25], v[46:47], s[2:3], v[16:17]
	s_wait_alu 0xfffe
	v_fma_f64 v[28:29], v[46:47], s[6:7], v[16:17]
	v_fma_f64 v[26:27], v[44:45], s[6:7], v[18:19]
	;; [unrolled: 1-line block ×3, first 2 shown]
	v_and_b32_e32 v59, 0xffff, v104
	v_fma_f64 v[32:33], v[38:39], s[2:3], v[63:64]
	v_fma_f64 v[34:35], v[91:92], s[6:7], v[65:66]
	;; [unrolled: 1-line block ×4, first 2 shown]
	v_lshlrev_b32_e32 v61, 4, v103
	v_and_b32_e32 v60, 0xffff, v105
	v_mul_u32_u24_e32 v59, 0x5a0, v59
	v_lshlrev_b32_e32 v62, 4, v107
	s_delay_alu instid0(VALU_DEP_4) | instskip(SKIP_2) | instid1(VALU_DEP_2)
	v_add3_u32 v53, 0, v53, v61
	v_lshlrev_b32_e32 v61, 4, v106
	v_mul_u32_u24_e32 v60, 0x5a0, v60
	v_add3_u32 v59, 0, v59, v61
	v_fma_f64 v[40:41], v[93:94], s[2:3], v[20:21]
	v_fma_f64 v[44:45], v[93:94], s[6:7], v[20:21]
	s_delay_alu instid0(VALU_DEP_4)
	v_add3_u32 v60, 0, v60, v62
	v_fma_f64 v[42:43], v[67:68], s[6:7], v[22:23]
	v_fma_f64 v[46:47], v[67:68], s[2:3], v[22:23]
	ds_store_b128 v53, v[4:7]
	ds_store_b128 v53, v[24:27] offset:480
	ds_store_b128 v53, v[28:31] offset:960
	ds_store_b128 v59, v[8:11]
	ds_store_b128 v59, v[32:35] offset:480
	ds_store_b128 v59, v[36:39] offset:960
	;; [unrolled: 3-line block ×3, first 2 shown]
	v_fma_f64 v[16:17], v[69:70], s[2:3], v[71:72]
	v_fma_f64 v[20:21], v[69:70], s[6:7], v[71:72]
	;; [unrolled: 1-line block ×4, first 2 shown]
	s_and_saveexec_b32 s1, s0
	s_cbranch_execz .LBB0_23
; %bb.22:
	v_lshl_add_u32 v4, v52, 4, 0
	ds_store_b128 v4, v[0:3] offset:11520
	ds_store_b128 v4, v[16:19] offset:12000
	;; [unrolled: 1-line block ×3, first 2 shown]
.LBB0_23:
	s_wait_alu 0xfffe
	s_or_b32 exec_lo, exec_lo, s1
	global_wb scope:SCOPE_SE
	s_wait_dscnt 0x0
	s_barrier_signal -1
	s_barrier_wait -1
	global_inv scope:SCOPE_SE
	ds_load_b128 v[8:11], v56
	ds_load_b128 v[4:7], v56 offset:1296
	ds_load_b128 v[36:39], v56 offset:8640
	;; [unrolled: 1-line block ×8, first 2 shown]
	s_and_saveexec_b32 s1, s0
	s_cbranch_execz .LBB0_25
; %bb.24:
	ds_load_b128 v[0:3], v56 offset:3888
	ds_load_b128 v[16:19], v56 offset:8208
	;; [unrolled: 1-line block ×3, first 2 shown]
.LBB0_25:
	s_wait_alu 0xfffe
	s_or_b32 exec_lo, exec_lo, s1
	v_dual_mov_b32 v64, 0 :: v_dual_lshlrev_b32 v63, 1, v48
	v_mul_lo_u16 v55, 0xb7, v55
	v_mul_u32_u24_e32 v58, 0x2d83, v58
	s_mov_b32 s6, s2
	s_delay_alu instid0(VALU_DEP_3) | instskip(SKIP_3) | instid1(VALU_DEP_4)
	v_lshlrev_b64_e32 v[52:53], 4, v[63:64]
	v_add_nc_u32_e32 v63, -9, v48
	v_lshrrev_b16 v103, 14, v55
	v_lshrrev_b32_e32 v55, 20, v58
	v_add_co_u32 v52, s1, s4, v52
	s_wait_alu 0xf1ff
	v_add_co_ci_u32_e64 v53, s1, s5, v53, s1
	v_cmp_gt_u32_e64 s1, 9, v48
	v_mul_lo_u16 v58, 0x5a, v103
	v_mul_lo_u16 v55, 0x5a, v55
	global_load_b128 v[59:62], v[52:53], off offset:1392
	s_wait_alu 0xf1ff
	v_cndmask_b32_e64 v104, v63, v54, s1
	v_sub_nc_u16 v58, v57, v58
	v_sub_nc_u16 v55, v49, v55
	s_delay_alu instid0(VALU_DEP_3) | instskip(NEXT) | instid1(VALU_DEP_3)
	v_lshlrev_b32_e32 v63, 1, v104
	v_and_b32_e32 v105, 0xff, v58
	s_delay_alu instid0(VALU_DEP_3) | instskip(NEXT) | instid1(VALU_DEP_3)
	v_and_b32_e32 v55, 0xffff, v55
	v_lshlrev_b64_e32 v[63:64], 4, v[63:64]
	s_delay_alu instid0(VALU_DEP_3) | instskip(NEXT) | instid1(VALU_DEP_3)
	v_lshlrev_b32_e32 v58, 5, v105
	v_lshlrev_b32_e32 v87, 5, v55
	s_delay_alu instid0(VALU_DEP_3) | instskip(SKIP_1) | instid1(VALU_DEP_4)
	v_add_co_u32 v71, s1, s4, v63
	s_wait_alu 0xf1ff
	v_add_co_ci_u32_e64 v72, s1, s5, v64, s1
	s_clause 0x6
	global_load_b128 v[63:66], v[52:53], off offset:1408
	global_load_b128 v[67:70], v[71:72], off offset:1392
	global_load_b128 v[71:74], v[71:72], off offset:1408
	global_load_b128 v[75:78], v58, s[4:5] offset:1392
	global_load_b128 v[79:82], v58, s[4:5] offset:1408
	;; [unrolled: 1-line block ×4, first 2 shown]
	v_cmp_lt_u32_e64 s1, 8, v48
	global_wb scope:SCOPE_SE
	s_wait_loadcnt_dscnt 0x0
	s_barrier_signal -1
	s_barrier_wait -1
	global_inv scope:SCOPE_SE
	v_mul_f64_e32 v[91:92], v[46:47], v[61:62]
	v_mul_f64_e32 v[61:62], v[44:45], v[61:62]
	;; [unrolled: 1-line block ×12, first 2 shown]
	v_fma_f64 v[44:45], v[44:45], v[59:60], v[91:92]
	v_fma_f64 v[46:47], v[46:47], v[59:60], -v[61:62]
	v_mul_f64_e32 v[58:59], v[18:19], v[85:86]
	v_mul_f64_e32 v[60:61], v[22:23], v[89:90]
	v_mul_f64_e32 v[85:86], v[16:17], v[85:86]
	v_mul_f64_e32 v[89:90], v[20:21], v[89:90]
	v_fma_f64 v[36:37], v[36:37], v[63:64], v[93:94]
	v_fma_f64 v[38:39], v[38:39], v[63:64], -v[65:66]
	v_fma_f64 v[40:41], v[40:41], v[67:68], v[95:96]
	v_fma_f64 v[42:43], v[42:43], v[67:68], -v[69:70]
	;; [unrolled: 2-line block ×5, first 2 shown]
	v_add_f64_e32 v[74:75], v[8:9], v[44:45]
	v_add_f64_e32 v[76:77], v[10:11], v[46:47]
	v_fma_f64 v[16:17], v[16:17], v[83:84], v[58:59]
	v_fma_f64 v[58:59], v[20:21], v[87:88], v[60:61]
	v_fma_f64 v[18:19], v[18:19], v[83:84], -v[85:86]
	v_fma_f64 v[60:61], v[22:23], v[87:88], -v[89:90]
	v_add_f64_e32 v[20:21], v[44:45], v[36:37]
	v_add_f64_e32 v[22:23], v[46:47], v[38:39]
	v_add_f64_e64 v[46:47], v[46:47], -v[38:39]
	v_add_f64_e32 v[78:79], v[4:5], v[40:41]
	v_add_f64_e32 v[62:63], v[40:41], v[24:25]
	;; [unrolled: 1-line block ×8, first 2 shown]
	v_add_f64_e64 v[44:45], v[44:45], -v[36:37]
	v_add_f64_e64 v[42:43], v[42:43], -v[26:27]
	;; [unrolled: 1-line block ×3, first 2 shown]
	v_add_f64_e32 v[86:87], v[0:1], v[16:17]
	v_add_f64_e32 v[70:71], v[16:17], v[58:59]
	;; [unrolled: 1-line block ×4, first 2 shown]
	v_add_f64_e64 v[90:91], v[18:19], -v[60:61]
	v_add_f64_e64 v[92:93], v[16:17], -v[58:59]
	v_fma_f64 v[8:9], v[20:21], -0.5, v[8:9]
	v_fma_f64 v[10:11], v[22:23], -0.5, v[10:11]
	v_add_f64_e32 v[16:17], v[78:79], v[24:25]
	v_fma_f64 v[4:5], v[62:63], -0.5, v[4:5]
	v_fma_f64 v[6:7], v[64:65], -0.5, v[6:7]
	v_add_f64_e64 v[62:63], v[30:31], -v[34:35]
	v_add_f64_e32 v[18:19], v[80:81], v[26:27]
	v_fma_f64 v[64:65], v[66:67], -0.5, v[12:13]
	v_add_f64_e64 v[66:67], v[28:29], -v[32:33]
	v_fma_f64 v[68:69], v[68:69], -0.5, v[14:15]
	v_add_f64_e32 v[12:13], v[74:75], v[36:37]
	v_add_f64_e32 v[14:15], v[76:77], v[38:39]
	;; [unrolled: 1-line block ×4, first 2 shown]
	v_fma_f64 v[70:71], v[70:71], -0.5, v[0:1]
	v_add_f64_e32 v[0:1], v[86:87], v[58:59]
	v_fma_f64 v[72:73], v[72:73], -0.5, v[2:3]
	v_add_f64_e32 v[2:3], v[88:89], v[60:61]
	s_wait_alu 0xf1ff
	v_cndmask_b32_e64 v58, 0, 0x10e0, s1
	v_lshlrev_b32_e32 v59, 4, v104
	v_and_b32_e32 v60, 0xffff, v103
	s_delay_alu instid0(VALU_DEP_2) | instskip(NEXT) | instid1(VALU_DEP_2)
	v_add3_u32 v58, 0, v58, v59
	v_mul_u32_u24_e32 v59, 0x10e0, v60
	v_lshlrev_b32_e32 v60, 4, v105
	s_delay_alu instid0(VALU_DEP_1)
	v_add3_u32 v59, 0, v59, v60
	v_fma_f64 v[24:25], v[46:47], s[2:3], v[8:9]
	s_wait_alu 0xfffe
	v_fma_f64 v[28:29], v[46:47], s[6:7], v[8:9]
	v_fma_f64 v[26:27], v[44:45], s[6:7], v[10:11]
	;; [unrolled: 1-line block ×11, first 2 shown]
	ds_store_b128 v56, v[12:15]
	ds_store_b128 v56, v[24:27] offset:1440
	ds_store_b128 v56, v[28:31] offset:2880
	ds_store_b128 v58, v[16:19]
	ds_store_b128 v58, v[32:35] offset:1440
	ds_store_b128 v58, v[36:39] offset:2880
	;; [unrolled: 3-line block ×3, first 2 shown]
	v_fma_f64 v[4:5], v[90:91], s[2:3], v[70:71]
	v_fma_f64 v[8:9], v[90:91], s[6:7], v[70:71]
	;; [unrolled: 1-line block ×4, first 2 shown]
	s_and_saveexec_b32 s1, s0
	s_cbranch_execz .LBB0_27
; %bb.26:
	v_lshl_add_u32 v12, v55, 4, 0
	ds_store_b128 v12, v[0:3] offset:8640
	ds_store_b128 v12, v[4:7] offset:10080
	;; [unrolled: 1-line block ×3, first 2 shown]
.LBB0_27:
	s_wait_alu 0xfffe
	s_or_b32 exec_lo, exec_lo, s1
	global_wb scope:SCOPE_SE
	s_wait_dscnt 0x0
	s_barrier_signal -1
	s_barrier_wait -1
	global_inv scope:SCOPE_SE
	ds_load_b128 v[20:23], v56
	ds_load_b128 v[12:15], v56 offset:1296
	ds_load_b128 v[36:39], v56 offset:8640
	;; [unrolled: 1-line block ×8, first 2 shown]
	s_and_saveexec_b32 s1, s0
	s_cbranch_execz .LBB0_29
; %bb.28:
	ds_load_b128 v[0:3], v56 offset:3888
	ds_load_b128 v[4:7], v56 offset:8208
	;; [unrolled: 1-line block ×3, first 2 shown]
.LBB0_29:
	s_wait_alu 0xfffe
	s_or_b32 exec_lo, exec_lo, s1
	v_dual_mov_b32 v55, 0 :: v_dual_lshlrev_b32 v54, 1, v54
	s_mov_b32 s6, s2
	s_delay_alu instid0(VALU_DEP_1)
	v_lshlrev_b64_e32 v[65:66], 4, v[54:55]
	v_lshlrev_b32_e32 v54, 1, v57
	s_clause 0x1
	global_load_b128 v[57:60], v[52:53], off offset:4288
	global_load_b128 v[61:64], v[52:53], off offset:4272
	v_lshlrev_b64_e32 v[52:53], 4, v[54:55]
	v_add_co_u32 v69, s1, s4, v65
	s_wait_alu 0xf1ff
	v_add_co_ci_u32_e64 v70, s1, s5, v66, s1
	s_delay_alu instid0(VALU_DEP_3)
	v_add_co_u32 v52, s1, s4, v52
	s_wait_alu 0xf1ff
	v_add_co_ci_u32_e64 v53, s1, s5, v53, s1
	s_clause 0x3
	global_load_b128 v[65:68], v[69:70], off offset:4272
	global_load_b128 v[69:72], v[69:70], off offset:4288
	global_load_b128 v[73:76], v[52:53], off offset:4272
	global_load_b128 v[77:80], v[52:53], off offset:4288
	global_wb scope:SCOPE_SE
	s_wait_loadcnt_dscnt 0x0
	s_barrier_signal -1
	s_barrier_wait -1
	global_inv scope:SCOPE_SE
	v_mul_f64_e32 v[81:82], v[38:39], v[59:60]
	v_mul_f64_e32 v[52:53], v[46:47], v[63:64]
	;; [unrolled: 1-line block ×12, first 2 shown]
	v_fma_f64 v[36:37], v[36:37], v[57:58], v[81:82]
	v_fma_f64 v[44:45], v[44:45], v[61:62], v[52:53]
	v_fma_f64 v[46:47], v[46:47], v[61:62], -v[63:64]
	v_fma_f64 v[38:39], v[38:39], v[57:58], -v[59:60]
	v_fma_f64 v[40:41], v[40:41], v[65:66], v[83:84]
	v_fma_f64 v[24:25], v[24:25], v[69:70], v[85:86]
	v_fma_f64 v[42:43], v[42:43], v[65:66], -v[67:68]
	v_fma_f64 v[26:27], v[26:27], v[69:70], -v[71:72]
	;; [unrolled: 4-line block ×3, first 2 shown]
	v_add_f64_e32 v[52:53], v[44:45], v[36:37]
	v_add_f64_e32 v[67:68], v[20:21], v[44:45]
	;; [unrolled: 1-line block ×3, first 2 shown]
	v_add_f64_e64 v[69:70], v[46:47], -v[38:39]
	v_add_f64_e32 v[46:47], v[22:23], v[46:47]
	v_add_f64_e64 v[44:45], v[44:45], -v[36:37]
	v_add_f64_e32 v[71:72], v[12:13], v[40:41]
	v_add_f64_e32 v[59:60], v[40:41], v[24:25]
	;; [unrolled: 1-line block ×8, first 2 shown]
	v_add_f64_e64 v[42:43], v[42:43], -v[26:27]
	v_add_f64_e64 v[40:41], v[40:41], -v[24:25]
	;; [unrolled: 1-line block ×4, first 2 shown]
	v_fma_f64 v[52:53], v[52:53], -0.5, v[20:21]
	v_fma_f64 v[57:58], v[57:58], -0.5, v[22:23]
	;; [unrolled: 1-line block ×3, first 2 shown]
	v_add_f64_e32 v[12:13], v[67:68], v[36:37]
	v_fma_f64 v[61:62], v[61:62], -0.5, v[14:15]
	v_add_f64_e32 v[14:15], v[46:47], v[38:39]
	v_fma_f64 v[63:64], v[63:64], -0.5, v[16:17]
	;; [unrolled: 2-line block ×3, first 2 shown]
	v_add_f64_e32 v[18:19], v[73:74], v[26:27]
	v_add_f64_e32 v[20:21], v[75:76], v[32:33]
	v_add_f64_e32 v[22:23], v[77:78], v[34:35]
	v_fma_f64 v[24:25], v[69:70], s[2:3], v[52:53]
	s_wait_alu 0xfffe
	v_fma_f64 v[28:29], v[69:70], s[6:7], v[52:53]
	v_fma_f64 v[26:27], v[44:45], s[6:7], v[57:58]
	v_fma_f64 v[30:31], v[44:45], s[2:3], v[57:58]
	v_fma_f64 v[36:37], v[42:43], s[6:7], v[59:60]
	v_fma_f64 v[32:33], v[42:43], s[2:3], v[59:60]
	v_fma_f64 v[38:39], v[40:41], s[2:3], v[61:62]
	v_fma_f64 v[34:35], v[40:41], s[6:7], v[61:62]
	v_fma_f64 v[40:41], v[79:80], s[2:3], v[63:64]
	v_fma_f64 v[44:45], v[79:80], s[6:7], v[63:64]
	v_fma_f64 v[42:43], v[81:82], s[6:7], v[65:66]
	v_fma_f64 v[46:47], v[81:82], s[2:3], v[65:66]
	ds_store_b128 v56, v[12:15]
	ds_store_b128 v56, v[16:19] offset:1296
	ds_store_b128 v56, v[24:27] offset:4320
	;; [unrolled: 1-line block ×8, first 2 shown]
	s_and_saveexec_b32 s1, s0
	s_cbranch_execz .LBB0_31
; %bb.30:
	v_subrev_nc_u32_e32 v12, 27, v48
	s_delay_alu instid0(VALU_DEP_1) | instskip(NEXT) | instid1(VALU_DEP_1)
	v_cndmask_b32_e64 v12, v12, v49, s0
	v_lshlrev_b32_e32 v54, 1, v12
	s_delay_alu instid0(VALU_DEP_1) | instskip(NEXT) | instid1(VALU_DEP_1)
	v_lshlrev_b64_e32 v[12:13], 4, v[54:55]
	v_add_co_u32 v16, s0, s4, v12
	s_wait_alu 0xf1ff
	s_delay_alu instid0(VALU_DEP_2)
	v_add_co_ci_u32_e64 v17, s0, s5, v13, s0
	s_clause 0x1
	global_load_b128 v[12:15], v[16:17], off offset:4272
	global_load_b128 v[16:19], v[16:17], off offset:4288
	s_wait_loadcnt 0x1
	v_mul_f64_e32 v[20:21], v[4:5], v[14:15]
	s_wait_loadcnt 0x0
	v_mul_f64_e32 v[22:23], v[8:9], v[18:19]
	v_mul_f64_e32 v[14:15], v[6:7], v[14:15]
	;; [unrolled: 1-line block ×3, first 2 shown]
	s_delay_alu instid0(VALU_DEP_4) | instskip(NEXT) | instid1(VALU_DEP_4)
	v_fma_f64 v[6:7], v[6:7], v[12:13], -v[20:21]
	v_fma_f64 v[10:11], v[10:11], v[16:17], -v[22:23]
	s_delay_alu instid0(VALU_DEP_4) | instskip(NEXT) | instid1(VALU_DEP_4)
	v_fma_f64 v[4:5], v[4:5], v[12:13], v[14:15]
	v_fma_f64 v[8:9], v[8:9], v[16:17], v[18:19]
	s_delay_alu instid0(VALU_DEP_4) | instskip(NEXT) | instid1(VALU_DEP_4)
	v_add_f64_e32 v[18:19], v[2:3], v[6:7]
	v_add_f64_e32 v[12:13], v[6:7], v[10:11]
	v_add_f64_e64 v[20:21], v[6:7], -v[10:11]
	s_delay_alu instid0(VALU_DEP_4)
	v_add_f64_e32 v[14:15], v[4:5], v[8:9]
	v_add_f64_e64 v[16:17], v[4:5], -v[8:9]
	v_add_f64_e32 v[4:5], v[0:1], v[4:5]
	v_fma_f64 v[12:13], v[12:13], -0.5, v[2:3]
	v_add_f64_e32 v[2:3], v[18:19], v[10:11]
	v_fma_f64 v[14:15], v[14:15], -0.5, v[0:1]
	s_delay_alu instid0(VALU_DEP_4) | instskip(NEXT) | instid1(VALU_DEP_4)
	v_add_f64_e32 v[0:1], v[4:5], v[8:9]
	v_fma_f64 v[10:11], v[16:17], s[6:7], v[12:13]
	v_fma_f64 v[6:7], v[16:17], s[2:3], v[12:13]
	s_delay_alu instid0(VALU_DEP_4)
	v_fma_f64 v[8:9], v[20:21], s[2:3], v[14:15]
	v_fma_f64 v[4:5], v[20:21], s[6:7], v[14:15]
	ds_store_b128 v56, v[0:3] offset:3888
	ds_store_b128 v56, v[8:11] offset:8208
	;; [unrolled: 1-line block ×3, first 2 shown]
.LBB0_31:
	s_wait_alu 0xfffe
	s_or_b32 exec_lo, exec_lo, s1
	global_wb scope:SCOPE_SE
	s_wait_dscnt 0x0
	s_barrier_signal -1
	s_barrier_wait -1
	global_inv scope:SCOPE_SE
	s_and_saveexec_b32 s0, vcc_lo
	s_cbranch_execz .LBB0_33
; %bb.32:
	v_dual_mov_b32 v49, 0 :: v_dual_add_nc_u32 v8, 0x51, v48
	v_add_co_u32 v36, vcc_lo, s8, v50
	v_lshl_add_u32 v34, v48, 4, 0
	s_delay_alu instid0(VALU_DEP_3) | instskip(SKIP_4) | instid1(VALU_DEP_4)
	v_lshlrev_b64_e32 v[0:1], 4, v[48:49]
	s_wait_alu 0xfffd
	v_add_co_ci_u32_e32 v37, vcc_lo, s9, v51, vcc_lo
	v_dual_mov_b32 v9, v49 :: v_dual_add_nc_u32 v10, 0xa2, v48
	v_dual_mov_b32 v11, v49 :: v_dual_add_nc_u32 v22, 0xf3, v48
	v_add_co_u32 v16, vcc_lo, v36, v0
	s_wait_alu 0xfffd
	v_add_co_ci_u32_e32 v17, vcc_lo, v37, v1, vcc_lo
	ds_load_b128 v[0:3], v34
	ds_load_b128 v[4:7], v34 offset:1296
	v_lshlrev_b64_e32 v[18:19], 4, v[8:9]
	v_lshlrev_b64_e32 v[20:21], 4, v[10:11]
	ds_load_b128 v[8:11], v34 offset:2592
	ds_load_b128 v[12:15], v34 offset:3888
	v_dual_mov_b32 v23, v49 :: v_dual_add_nc_u32 v24, 0x144, v48
	v_mov_b32_e32 v25, v49
	v_add_co_u32 v18, vcc_lo, v36, v18
	s_delay_alu instid0(VALU_DEP_3)
	v_lshlrev_b64_e32 v[22:23], 4, v[22:23]
	s_wait_alu 0xfffd
	v_add_co_ci_u32_e32 v19, vcc_lo, v37, v19, vcc_lo
	v_add_co_u32 v20, vcc_lo, v36, v20
	s_wait_alu 0xfffd
	v_add_co_ci_u32_e32 v21, vcc_lo, v37, v21, vcc_lo
	v_add_co_u32 v22, vcc_lo, v36, v22
	s_wait_dscnt 0x3
	global_store_b128 v[16:17], v[0:3], off
	s_wait_dscnt 0x2
	global_store_b128 v[18:19], v[4:7], off
	v_dual_mov_b32 v3, v49 :: v_dual_add_nc_u32 v2, 0x195, v48
	s_wait_alu 0xfffd
	v_add_co_ci_u32_e32 v23, vcc_lo, v37, v23, vcc_lo
	v_lshlrev_b64_e32 v[0:1], 4, v[24:25]
	s_wait_dscnt 0x1
	global_store_b128 v[20:21], v[8:11], off
	s_wait_dscnt 0x0
	global_store_b128 v[22:23], v[12:15], off
	v_add_nc_u32_e32 v10, 0x1e6, v48
	v_lshlrev_b64_e32 v[8:9], 4, v[2:3]
	v_dual_mov_b32 v11, v49 :: v_dual_add_nc_u32 v16, 0x237, v48
	v_add_co_u32 v24, vcc_lo, v36, v0
	s_wait_alu 0xfffd
	v_add_co_ci_u32_e32 v25, vcc_lo, v37, v1, vcc_lo
	s_delay_alu instid0(VALU_DEP_4)
	v_add_co_u32 v26, vcc_lo, v36, v8
	s_wait_alu 0xfffd
	v_add_co_ci_u32_e32 v27, vcc_lo, v37, v9, vcc_lo
	v_lshlrev_b64_e32 v[8:9], 4, v[10:11]
	v_dual_mov_b32 v17, v49 :: v_dual_add_nc_u32 v18, 0x288, v48
	v_dual_mov_b32 v19, v49 :: v_dual_add_nc_u32 v48, 0x2d9, v48
	ds_load_b128 v[0:3], v34 offset:5184
	ds_load_b128 v[4:7], v34 offset:6480
	v_add_co_u32 v28, vcc_lo, v36, v8
	s_wait_alu 0xfffd
	v_add_co_ci_u32_e32 v29, vcc_lo, v37, v9, vcc_lo
	ds_load_b128 v[8:11], v34 offset:7776
	ds_load_b128 v[12:15], v34 offset:9072
	v_lshlrev_b64_e32 v[30:31], 4, v[16:17]
	v_lshlrev_b64_e32 v[32:33], 4, v[18:19]
	ds_load_b128 v[16:19], v34 offset:10368
	ds_load_b128 v[20:23], v34 offset:11664
	v_lshlrev_b64_e32 v[34:35], 4, v[48:49]
	v_add_co_u32 v30, vcc_lo, v36, v30
	s_wait_alu 0xfffd
	v_add_co_ci_u32_e32 v31, vcc_lo, v37, v31, vcc_lo
	v_add_co_u32 v32, vcc_lo, v36, v32
	s_wait_alu 0xfffd
	v_add_co_ci_u32_e32 v33, vcc_lo, v37, v33, vcc_lo
	;; [unrolled: 3-line block ×3, first 2 shown]
	s_wait_dscnt 0x5
	global_store_b128 v[24:25], v[0:3], off
	s_wait_dscnt 0x4
	global_store_b128 v[26:27], v[4:7], off
	;; [unrolled: 2-line block ×6, first 2 shown]
.LBB0_33:
	s_nop 0
	s_sendmsg sendmsg(MSG_DEALLOC_VGPRS)
	s_endpgm
	.section	.rodata,"a",@progbits
	.p2align	6, 0x0
	.amdhsa_kernel fft_rtc_back_len810_factors_3_10_3_3_3_wgs_81_tpt_81_halfLds_dp_ip_CI_unitstride_sbrr_C2R_dirReg
		.amdhsa_group_segment_fixed_size 0
		.amdhsa_private_segment_fixed_size 0
		.amdhsa_kernarg_size 88
		.amdhsa_user_sgpr_count 2
		.amdhsa_user_sgpr_dispatch_ptr 0
		.amdhsa_user_sgpr_queue_ptr 0
		.amdhsa_user_sgpr_kernarg_segment_ptr 1
		.amdhsa_user_sgpr_dispatch_id 0
		.amdhsa_user_sgpr_private_segment_size 0
		.amdhsa_wavefront_size32 1
		.amdhsa_uses_dynamic_stack 0
		.amdhsa_enable_private_segment 0
		.amdhsa_system_sgpr_workgroup_id_x 1
		.amdhsa_system_sgpr_workgroup_id_y 0
		.amdhsa_system_sgpr_workgroup_id_z 0
		.amdhsa_system_sgpr_workgroup_info 0
		.amdhsa_system_vgpr_workitem_id 0
		.amdhsa_next_free_vgpr 108
		.amdhsa_next_free_sgpr 32
		.amdhsa_reserve_vcc 1
		.amdhsa_float_round_mode_32 0
		.amdhsa_float_round_mode_16_64 0
		.amdhsa_float_denorm_mode_32 3
		.amdhsa_float_denorm_mode_16_64 3
		.amdhsa_fp16_overflow 0
		.amdhsa_workgroup_processor_mode 1
		.amdhsa_memory_ordered 1
		.amdhsa_forward_progress 0
		.amdhsa_round_robin_scheduling 0
		.amdhsa_exception_fp_ieee_invalid_op 0
		.amdhsa_exception_fp_denorm_src 0
		.amdhsa_exception_fp_ieee_div_zero 0
		.amdhsa_exception_fp_ieee_overflow 0
		.amdhsa_exception_fp_ieee_underflow 0
		.amdhsa_exception_fp_ieee_inexact 0
		.amdhsa_exception_int_div_zero 0
	.end_amdhsa_kernel
	.text
.Lfunc_end0:
	.size	fft_rtc_back_len810_factors_3_10_3_3_3_wgs_81_tpt_81_halfLds_dp_ip_CI_unitstride_sbrr_C2R_dirReg, .Lfunc_end0-fft_rtc_back_len810_factors_3_10_3_3_3_wgs_81_tpt_81_halfLds_dp_ip_CI_unitstride_sbrr_C2R_dirReg
                                        ; -- End function
	.section	.AMDGPU.csdata,"",@progbits
; Kernel info:
; codeLenInByte = 9500
; NumSgprs: 34
; NumVgprs: 108
; ScratchSize: 0
; MemoryBound: 0
; FloatMode: 240
; IeeeMode: 1
; LDSByteSize: 0 bytes/workgroup (compile time only)
; SGPRBlocks: 4
; VGPRBlocks: 13
; NumSGPRsForWavesPerEU: 34
; NumVGPRsForWavesPerEU: 108
; Occupancy: 12
; WaveLimiterHint : 1
; COMPUTE_PGM_RSRC2:SCRATCH_EN: 0
; COMPUTE_PGM_RSRC2:USER_SGPR: 2
; COMPUTE_PGM_RSRC2:TRAP_HANDLER: 0
; COMPUTE_PGM_RSRC2:TGID_X_EN: 1
; COMPUTE_PGM_RSRC2:TGID_Y_EN: 0
; COMPUTE_PGM_RSRC2:TGID_Z_EN: 0
; COMPUTE_PGM_RSRC2:TIDIG_COMP_CNT: 0
	.text
	.p2alignl 7, 3214868480
	.fill 96, 4, 3214868480
	.type	__hip_cuid_23d470ee1586478e,@object ; @__hip_cuid_23d470ee1586478e
	.section	.bss,"aw",@nobits
	.globl	__hip_cuid_23d470ee1586478e
__hip_cuid_23d470ee1586478e:
	.byte	0                               ; 0x0
	.size	__hip_cuid_23d470ee1586478e, 1

	.ident	"AMD clang version 19.0.0git (https://github.com/RadeonOpenCompute/llvm-project roc-6.4.0 25133 c7fe45cf4b819c5991fe208aaa96edf142730f1d)"
	.section	".note.GNU-stack","",@progbits
	.addrsig
	.addrsig_sym __hip_cuid_23d470ee1586478e
	.amdgpu_metadata
---
amdhsa.kernels:
  - .args:
      - .actual_access:  read_only
        .address_space:  global
        .offset:         0
        .size:           8
        .value_kind:     global_buffer
      - .offset:         8
        .size:           8
        .value_kind:     by_value
      - .actual_access:  read_only
        .address_space:  global
        .offset:         16
        .size:           8
        .value_kind:     global_buffer
      - .actual_access:  read_only
        .address_space:  global
        .offset:         24
        .size:           8
        .value_kind:     global_buffer
      - .offset:         32
        .size:           8
        .value_kind:     by_value
      - .actual_access:  read_only
        .address_space:  global
        .offset:         40
        .size:           8
        .value_kind:     global_buffer
      - .actual_access:  read_only
        .address_space:  global
        .offset:         48
        .size:           8
        .value_kind:     global_buffer
      - .offset:         56
        .size:           4
        .value_kind:     by_value
      - .actual_access:  read_only
        .address_space:  global
        .offset:         64
        .size:           8
        .value_kind:     global_buffer
      - .actual_access:  read_only
        .address_space:  global
        .offset:         72
        .size:           8
        .value_kind:     global_buffer
      - .address_space:  global
        .offset:         80
        .size:           8
        .value_kind:     global_buffer
    .group_segment_fixed_size: 0
    .kernarg_segment_align: 8
    .kernarg_segment_size: 88
    .language:       OpenCL C
    .language_version:
      - 2
      - 0
    .max_flat_workgroup_size: 81
    .name:           fft_rtc_back_len810_factors_3_10_3_3_3_wgs_81_tpt_81_halfLds_dp_ip_CI_unitstride_sbrr_C2R_dirReg
    .private_segment_fixed_size: 0
    .sgpr_count:     34
    .sgpr_spill_count: 0
    .symbol:         fft_rtc_back_len810_factors_3_10_3_3_3_wgs_81_tpt_81_halfLds_dp_ip_CI_unitstride_sbrr_C2R_dirReg.kd
    .uniform_work_group_size: 1
    .uses_dynamic_stack: false
    .vgpr_count:     108
    .vgpr_spill_count: 0
    .wavefront_size: 32
    .workgroup_processor_mode: 1
amdhsa.target:   amdgcn-amd-amdhsa--gfx1201
amdhsa.version:
  - 1
  - 2
...

	.end_amdgpu_metadata
